;; amdgpu-corpus repo=ROCm/rocFFT kind=compiled arch=gfx1201 opt=O3
	.text
	.amdgcn_target "amdgcn-amd-amdhsa--gfx1201"
	.amdhsa_code_object_version 6
	.protected	fft_rtc_fwd_len80_factors_5_2_8_wgs_60_tpt_10_halfLds_sp_op_CI_CI_unitstride_sbrr_R2C_dirReg ; -- Begin function fft_rtc_fwd_len80_factors_5_2_8_wgs_60_tpt_10_halfLds_sp_op_CI_CI_unitstride_sbrr_R2C_dirReg
	.globl	fft_rtc_fwd_len80_factors_5_2_8_wgs_60_tpt_10_halfLds_sp_op_CI_CI_unitstride_sbrr_R2C_dirReg
	.p2align	8
	.type	fft_rtc_fwd_len80_factors_5_2_8_wgs_60_tpt_10_halfLds_sp_op_CI_CI_unitstride_sbrr_R2C_dirReg,@function
fft_rtc_fwd_len80_factors_5_2_8_wgs_60_tpt_10_halfLds_sp_op_CI_CI_unitstride_sbrr_R2C_dirReg: ; @fft_rtc_fwd_len80_factors_5_2_8_wgs_60_tpt_10_halfLds_sp_op_CI_CI_unitstride_sbrr_R2C_dirReg
; %bb.0:
	s_load_b128 s[8:11], s[0:1], 0x0
	v_mul_u32_u24_e32 v1, 0x199a, v0
	s_clause 0x1
	s_load_b128 s[4:7], s[0:1], 0x58
	s_load_b128 s[12:15], s[0:1], 0x18
	v_mov_b32_e32 v5, 0
	v_lshrrev_b32_e32 v3, 16, v1
	v_mov_b32_e32 v1, 0
	v_mov_b32_e32 v2, 0
	s_delay_alu instid0(VALU_DEP_3) | instskip(NEXT) | instid1(VALU_DEP_2)
	v_mad_co_u64_u32 v[3:4], null, ttmp9, 6, v[3:4]
	v_dual_mov_b32 v4, v5 :: v_dual_mov_b32 v17, v2
	s_delay_alu instid0(VALU_DEP_1) | instskip(NEXT) | instid1(VALU_DEP_3)
	v_dual_mov_b32 v16, v1 :: v_dual_mov_b32 v19, v4
	v_mov_b32_e32 v18, v3
	s_wait_kmcnt 0x0
	v_cmp_lt_u64_e64 s2, s[10:11], 2
	s_delay_alu instid0(VALU_DEP_1)
	s_and_b32 vcc_lo, exec_lo, s2
	s_cbranch_vccnz .LBB0_8
; %bb.1:
	s_load_b64 s[2:3], s[0:1], 0x10
	v_dual_mov_b32 v1, 0 :: v_dual_mov_b32 v8, v4
	v_dual_mov_b32 v2, 0 :: v_dual_mov_b32 v7, v3
	s_add_nc_u64 s[16:17], s[14:15], 8
	s_add_nc_u64 s[18:19], s[12:13], 8
	s_mov_b64 s[20:21], 1
	s_delay_alu instid0(VALU_DEP_1)
	v_dual_mov_b32 v17, v2 :: v_dual_mov_b32 v16, v1
	s_wait_kmcnt 0x0
	s_add_nc_u64 s[22:23], s[2:3], 8
	s_mov_b32 s3, 0
.LBB0_2:                                ; =>This Inner Loop Header: Depth=1
	s_load_b64 s[24:25], s[22:23], 0x0
                                        ; implicit-def: $vgpr18_vgpr19
	s_mov_b32 s2, exec_lo
	s_wait_kmcnt 0x0
	v_or_b32_e32 v6, s25, v8
	s_delay_alu instid0(VALU_DEP_1)
	v_cmpx_ne_u64_e32 0, v[5:6]
	s_wait_alu 0xfffe
	s_xor_b32 s26, exec_lo, s2
	s_cbranch_execz .LBB0_4
; %bb.3:                                ;   in Loop: Header=BB0_2 Depth=1
	s_cvt_f32_u32 s2, s24
	s_cvt_f32_u32 s27, s25
	s_sub_nc_u64 s[30:31], 0, s[24:25]
	s_wait_alu 0xfffe
	s_delay_alu instid0(SALU_CYCLE_1) | instskip(SKIP_1) | instid1(SALU_CYCLE_2)
	s_fmamk_f32 s2, s27, 0x4f800000, s2
	s_wait_alu 0xfffe
	v_s_rcp_f32 s2, s2
	s_delay_alu instid0(TRANS32_DEP_1) | instskip(SKIP_1) | instid1(SALU_CYCLE_2)
	s_mul_f32 s2, s2, 0x5f7ffffc
	s_wait_alu 0xfffe
	s_mul_f32 s27, s2, 0x2f800000
	s_wait_alu 0xfffe
	s_delay_alu instid0(SALU_CYCLE_2) | instskip(SKIP_1) | instid1(SALU_CYCLE_2)
	s_trunc_f32 s27, s27
	s_wait_alu 0xfffe
	s_fmamk_f32 s2, s27, 0xcf800000, s2
	s_cvt_u32_f32 s29, s27
	s_wait_alu 0xfffe
	s_delay_alu instid0(SALU_CYCLE_1) | instskip(SKIP_1) | instid1(SALU_CYCLE_2)
	s_cvt_u32_f32 s28, s2
	s_wait_alu 0xfffe
	s_mul_u64 s[34:35], s[30:31], s[28:29]
	s_wait_alu 0xfffe
	s_mul_hi_u32 s37, s28, s35
	s_mul_i32 s36, s28, s35
	s_mul_hi_u32 s2, s28, s34
	s_mul_i32 s33, s29, s34
	s_wait_alu 0xfffe
	s_add_nc_u64 s[36:37], s[2:3], s[36:37]
	s_mul_hi_u32 s27, s29, s34
	s_mul_hi_u32 s38, s29, s35
	s_add_co_u32 s2, s36, s33
	s_wait_alu 0xfffe
	s_add_co_ci_u32 s2, s37, s27
	s_mul_i32 s34, s29, s35
	s_add_co_ci_u32 s35, s38, 0
	s_wait_alu 0xfffe
	s_add_nc_u64 s[34:35], s[2:3], s[34:35]
	s_wait_alu 0xfffe
	v_add_co_u32 v4, s2, s28, s34
	s_delay_alu instid0(VALU_DEP_1) | instskip(SKIP_1) | instid1(VALU_DEP_1)
	s_cmp_lg_u32 s2, 0
	s_add_co_ci_u32 s29, s29, s35
	v_readfirstlane_b32 s28, v4
	s_wait_alu 0xfffe
	s_delay_alu instid0(VALU_DEP_1)
	s_mul_u64 s[30:31], s[30:31], s[28:29]
	s_wait_alu 0xfffe
	s_mul_hi_u32 s35, s28, s31
	s_mul_i32 s34, s28, s31
	s_mul_hi_u32 s2, s28, s30
	s_mul_i32 s33, s29, s30
	s_wait_alu 0xfffe
	s_add_nc_u64 s[34:35], s[2:3], s[34:35]
	s_mul_hi_u32 s27, s29, s30
	s_mul_hi_u32 s28, s29, s31
	s_wait_alu 0xfffe
	s_add_co_u32 s2, s34, s33
	s_add_co_ci_u32 s2, s35, s27
	s_mul_i32 s30, s29, s31
	s_add_co_ci_u32 s31, s28, 0
	s_wait_alu 0xfffe
	s_add_nc_u64 s[30:31], s[2:3], s[30:31]
	s_wait_alu 0xfffe
	v_add_co_u32 v4, s2, v4, s30
	s_delay_alu instid0(VALU_DEP_1) | instskip(SKIP_1) | instid1(VALU_DEP_1)
	s_cmp_lg_u32 s2, 0
	s_add_co_ci_u32 s2, s29, s31
	v_mul_hi_u32 v6, v7, v4
	s_wait_alu 0xfffe
	v_mad_co_u64_u32 v[9:10], null, v7, s2, 0
	v_mad_co_u64_u32 v[11:12], null, v8, v4, 0
	;; [unrolled: 1-line block ×3, first 2 shown]
	s_delay_alu instid0(VALU_DEP_3) | instskip(SKIP_1) | instid1(VALU_DEP_4)
	v_add_co_u32 v4, vcc_lo, v6, v9
	s_wait_alu 0xfffd
	v_add_co_ci_u32_e32 v6, vcc_lo, 0, v10, vcc_lo
	s_delay_alu instid0(VALU_DEP_2) | instskip(SKIP_1) | instid1(VALU_DEP_2)
	v_add_co_u32 v4, vcc_lo, v4, v11
	s_wait_alu 0xfffd
	v_add_co_ci_u32_e32 v4, vcc_lo, v6, v12, vcc_lo
	s_wait_alu 0xfffd
	v_add_co_ci_u32_e32 v6, vcc_lo, 0, v14, vcc_lo
	s_delay_alu instid0(VALU_DEP_2) | instskip(SKIP_1) | instid1(VALU_DEP_2)
	v_add_co_u32 v4, vcc_lo, v4, v13
	s_wait_alu 0xfffd
	v_add_co_ci_u32_e32 v6, vcc_lo, 0, v6, vcc_lo
	s_delay_alu instid0(VALU_DEP_2) | instskip(SKIP_1) | instid1(VALU_DEP_3)
	v_mul_lo_u32 v11, s25, v4
	v_mad_co_u64_u32 v[9:10], null, s24, v4, 0
	v_mul_lo_u32 v12, s24, v6
	s_delay_alu instid0(VALU_DEP_2) | instskip(NEXT) | instid1(VALU_DEP_2)
	v_sub_co_u32 v9, vcc_lo, v7, v9
	v_add3_u32 v10, v10, v12, v11
	s_delay_alu instid0(VALU_DEP_1) | instskip(SKIP_1) | instid1(VALU_DEP_1)
	v_sub_nc_u32_e32 v11, v8, v10
	s_wait_alu 0xfffd
	v_subrev_co_ci_u32_e64 v11, s2, s25, v11, vcc_lo
	v_add_co_u32 v12, s2, v4, 2
	s_wait_alu 0xf1ff
	v_add_co_ci_u32_e64 v13, s2, 0, v6, s2
	v_sub_co_u32 v14, s2, v9, s24
	v_sub_co_ci_u32_e32 v10, vcc_lo, v8, v10, vcc_lo
	s_wait_alu 0xf1ff
	v_subrev_co_ci_u32_e64 v11, s2, 0, v11, s2
	s_delay_alu instid0(VALU_DEP_3) | instskip(NEXT) | instid1(VALU_DEP_3)
	v_cmp_le_u32_e32 vcc_lo, s24, v14
	v_cmp_eq_u32_e64 s2, s25, v10
	s_wait_alu 0xfffd
	v_cndmask_b32_e64 v14, 0, -1, vcc_lo
	v_cmp_le_u32_e32 vcc_lo, s25, v11
	s_wait_alu 0xfffd
	v_cndmask_b32_e64 v15, 0, -1, vcc_lo
	v_cmp_le_u32_e32 vcc_lo, s24, v9
	;; [unrolled: 3-line block ×3, first 2 shown]
	s_wait_alu 0xfffd
	v_cndmask_b32_e64 v18, 0, -1, vcc_lo
	v_cmp_eq_u32_e32 vcc_lo, s25, v11
	s_wait_alu 0xf1ff
	s_delay_alu instid0(VALU_DEP_2)
	v_cndmask_b32_e64 v9, v18, v9, s2
	s_wait_alu 0xfffd
	v_cndmask_b32_e32 v11, v15, v14, vcc_lo
	v_add_co_u32 v14, vcc_lo, v4, 1
	s_wait_alu 0xfffd
	v_add_co_ci_u32_e32 v15, vcc_lo, 0, v6, vcc_lo
	s_delay_alu instid0(VALU_DEP_3) | instskip(SKIP_1) | instid1(VALU_DEP_2)
	v_cmp_ne_u32_e32 vcc_lo, 0, v11
	s_wait_alu 0xfffd
	v_dual_cndmask_b32 v10, v15, v13 :: v_dual_cndmask_b32 v11, v14, v12
	v_cmp_ne_u32_e32 vcc_lo, 0, v9
	s_wait_alu 0xfffd
	s_delay_alu instid0(VALU_DEP_2)
	v_dual_cndmask_b32 v19, v6, v10 :: v_dual_cndmask_b32 v18, v4, v11
.LBB0_4:                                ;   in Loop: Header=BB0_2 Depth=1
	s_wait_alu 0xfffe
	s_and_not1_saveexec_b32 s2, s26
	s_cbranch_execz .LBB0_6
; %bb.5:                                ;   in Loop: Header=BB0_2 Depth=1
	v_cvt_f32_u32_e32 v4, s24
	s_sub_co_i32 s26, 0, s24
	v_mov_b32_e32 v19, v5
	s_delay_alu instid0(VALU_DEP_2) | instskip(NEXT) | instid1(TRANS32_DEP_1)
	v_rcp_iflag_f32_e32 v4, v4
	v_mul_f32_e32 v4, 0x4f7ffffe, v4
	s_delay_alu instid0(VALU_DEP_1) | instskip(SKIP_1) | instid1(VALU_DEP_1)
	v_cvt_u32_f32_e32 v4, v4
	s_wait_alu 0xfffe
	v_mul_lo_u32 v6, s26, v4
	s_delay_alu instid0(VALU_DEP_1) | instskip(NEXT) | instid1(VALU_DEP_1)
	v_mul_hi_u32 v6, v4, v6
	v_add_nc_u32_e32 v4, v4, v6
	s_delay_alu instid0(VALU_DEP_1) | instskip(NEXT) | instid1(VALU_DEP_1)
	v_mul_hi_u32 v4, v7, v4
	v_mul_lo_u32 v6, v4, s24
	s_delay_alu instid0(VALU_DEP_1) | instskip(NEXT) | instid1(VALU_DEP_1)
	v_sub_nc_u32_e32 v6, v7, v6
	v_subrev_nc_u32_e32 v10, s24, v6
	v_cmp_le_u32_e32 vcc_lo, s24, v6
	s_wait_alu 0xfffd
	s_delay_alu instid0(VALU_DEP_2) | instskip(NEXT) | instid1(VALU_DEP_1)
	v_dual_cndmask_b32 v6, v6, v10 :: v_dual_add_nc_u32 v9, 1, v4
	v_cndmask_b32_e32 v4, v4, v9, vcc_lo
	s_delay_alu instid0(VALU_DEP_2) | instskip(NEXT) | instid1(VALU_DEP_2)
	v_cmp_le_u32_e32 vcc_lo, s24, v6
	v_add_nc_u32_e32 v9, 1, v4
	s_wait_alu 0xfffd
	s_delay_alu instid0(VALU_DEP_1)
	v_cndmask_b32_e32 v18, v4, v9, vcc_lo
.LBB0_6:                                ;   in Loop: Header=BB0_2 Depth=1
	s_wait_alu 0xfffe
	s_or_b32 exec_lo, exec_lo, s2
	v_mul_lo_u32 v4, v19, s24
	s_delay_alu instid0(VALU_DEP_2)
	v_mul_lo_u32 v6, v18, s25
	s_load_b64 s[26:27], s[18:19], 0x0
	v_mad_co_u64_u32 v[9:10], null, v18, s24, 0
	s_load_b64 s[24:25], s[16:17], 0x0
	s_add_nc_u64 s[20:21], s[20:21], 1
	s_add_nc_u64 s[16:17], s[16:17], 8
	s_wait_alu 0xfffe
	v_cmp_ge_u64_e64 s2, s[20:21], s[10:11]
	s_add_nc_u64 s[18:19], s[18:19], 8
	s_add_nc_u64 s[22:23], s[22:23], 8
	v_add3_u32 v4, v10, v6, v4
	v_sub_co_u32 v6, vcc_lo, v7, v9
	s_wait_alu 0xfffd
	s_delay_alu instid0(VALU_DEP_2) | instskip(SKIP_2) | instid1(VALU_DEP_1)
	v_sub_co_ci_u32_e32 v4, vcc_lo, v8, v4, vcc_lo
	s_and_b32 vcc_lo, exec_lo, s2
	s_wait_kmcnt 0x0
	v_mul_lo_u32 v7, s26, v4
	v_mul_lo_u32 v8, s27, v6
	v_mad_co_u64_u32 v[1:2], null, s26, v6, v[1:2]
	v_mul_lo_u32 v4, s24, v4
	v_mul_lo_u32 v9, s25, v6
	v_mad_co_u64_u32 v[16:17], null, s24, v6, v[16:17]
	s_delay_alu instid0(VALU_DEP_4) | instskip(NEXT) | instid1(VALU_DEP_2)
	v_add3_u32 v2, v8, v2, v7
	v_add3_u32 v17, v9, v17, v4
	s_wait_alu 0xfffe
	s_cbranch_vccnz .LBB0_8
; %bb.7:                                ;   in Loop: Header=BB0_2 Depth=1
	v_dual_mov_b32 v7, v18 :: v_dual_mov_b32 v8, v19
	s_branch .LBB0_2
.LBB0_8:
	s_load_b64 s[0:1], s[0:1], 0x28
	v_mul_hi_u32 v4, 0xaaaaaaab, v3
	s_lshl_b64 s[10:11], s[10:11], 3
                                        ; implicit-def: $vgpr20
                                        ; implicit-def: $vgpr22
	s_delay_alu instid0(VALU_DEP_1) | instskip(NEXT) | instid1(VALU_DEP_1)
	v_lshrrev_b32_e32 v4, 2, v4
	v_mul_lo_u32 v5, v4, 6
	v_mul_hi_u32 v4, 0x1999999a, v0
	s_wait_kmcnt 0x0
	v_cmp_gt_u64_e32 vcc_lo, s[0:1], v[18:19]
	v_cmp_le_u64_e64 s0, s[0:1], v[18:19]
	s_delay_alu instid0(VALU_DEP_4) | instskip(NEXT) | instid1(VALU_DEP_2)
	v_sub_nc_u32_e32 v3, v3, v5
	s_and_saveexec_b32 s1, s0
	s_wait_alu 0xfffe
	s_xor_b32 s0, exec_lo, s1
; %bb.9:
	v_mul_u32_u24_e32 v1, 10, v4
                                        ; implicit-def: $vgpr4
	s_delay_alu instid0(VALU_DEP_1) | instskip(NEXT) | instid1(VALU_DEP_1)
	v_sub_nc_u32_e32 v20, v0, v1
                                        ; implicit-def: $vgpr0
                                        ; implicit-def: $vgpr1_vgpr2
	v_add_nc_u32_e32 v22, 10, v20
; %bb.10:
	s_wait_alu 0xfffe
	s_or_saveexec_b32 s1, s0
	v_mul_u32_u24_e32 v3, 0x51, v3
	s_add_nc_u64 s[2:3], s[14:15], s[10:11]
	s_delay_alu instid0(VALU_DEP_1)
	v_lshlrev_b32_e32 v28, 3, v3
	s_wait_alu 0xfffe
	s_xor_b32 exec_lo, exec_lo, s1
	s_cbranch_execz .LBB0_12
; %bb.11:
	s_add_nc_u64 s[10:11], s[12:13], s[10:11]
	v_lshlrev_b64_e32 v[1:2], 3, v[1:2]
	s_load_b64 s[10:11], s[10:11], 0x0
	s_wait_kmcnt 0x0
	v_mul_lo_u32 v3, s11, v18
	v_mul_lo_u32 v7, s10, v19
	v_mad_co_u64_u32 v[5:6], null, s10, v18, 0
	s_delay_alu instid0(VALU_DEP_1) | instskip(SKIP_1) | instid1(VALU_DEP_2)
	v_add3_u32 v6, v6, v7, v3
	v_mul_u32_u24_e32 v7, 10, v4
	v_lshlrev_b64_e32 v[3:4], 3, v[5:6]
	s_delay_alu instid0(VALU_DEP_2) | instskip(NEXT) | instid1(VALU_DEP_1)
	v_sub_nc_u32_e32 v20, v0, v7
	v_lshlrev_b32_e32 v21, 3, v20
	s_delay_alu instid0(VALU_DEP_3) | instskip(SKIP_1) | instid1(VALU_DEP_4)
	v_add_co_u32 v0, s0, s4, v3
	s_wait_alu 0xf1ff
	v_add_co_ci_u32_e64 v3, s0, s5, v4, s0
	v_add_nc_u32_e32 v22, 10, v20
	s_delay_alu instid0(VALU_DEP_3) | instskip(SKIP_1) | instid1(VALU_DEP_3)
	v_add_co_u32 v0, s0, v0, v1
	s_wait_alu 0xf1ff
	v_add_co_ci_u32_e64 v1, s0, v3, v2, s0
	s_delay_alu instid0(VALU_DEP_2) | instskip(SKIP_1) | instid1(VALU_DEP_2)
	v_add_co_u32 v0, s0, v0, v21
	s_wait_alu 0xf1ff
	v_add_co_ci_u32_e64 v1, s0, 0, v1, s0
	s_clause 0x7
	global_load_b64 v[2:3], v[0:1], off
	global_load_b64 v[4:5], v[0:1], off offset:80
	global_load_b64 v[6:7], v[0:1], off offset:160
	;; [unrolled: 1-line block ×7, first 2 shown]
	v_add3_u32 v21, 0, v28, v21
	s_wait_loadcnt 0x6
	ds_store_2addr_b64 v21, v[2:3], v[4:5] offset1:10
	s_wait_loadcnt 0x4
	ds_store_2addr_b64 v21, v[6:7], v[8:9] offset0:20 offset1:30
	s_wait_loadcnt 0x2
	ds_store_2addr_b64 v21, v[10:11], v[12:13] offset0:40 offset1:50
	;; [unrolled: 2-line block ×3, first 2 shown]
.LBB0_12:
	s_or_b32 exec_lo, exec_lo, s1
	v_lshlrev_b32_e32 v21, 3, v20
	v_add_nc_u32_e32 v25, 0, v28
	s_load_b64 s[2:3], s[2:3], 0x0
	global_wb scope:SCOPE_SE
	s_wait_dscnt 0x0
	s_wait_kmcnt 0x0
	s_barrier_signal -1
	v_add3_u32 v27, 0, v21, v28
	v_add_nc_u32_e32 v26, v25, v21
	s_barrier_wait -1
	global_inv scope:SCOPE_SE
	s_mov_b32 s1, exec_lo
	ds_load_2addr_b64 v[0:3], v27 offset0:10 offset1:16
	ds_load_2addr_b64 v[4:7], v27 offset0:26 offset1:32
	ds_load_b64 v[29:30], v26
	ds_load_2addr_b64 v[8:11], v27 offset0:42 offset1:48
	ds_load_2addr_b64 v[12:15], v27 offset0:58 offset1:64
	ds_load_b64 v[23:24], v27 offset:592
	global_wb scope:SCOPE_SE
	s_wait_dscnt 0x0
	s_barrier_signal -1
	s_barrier_wait -1
	global_inv scope:SCOPE_SE
	v_sub_f32_e32 v33, v2, v6
	v_dual_add_f32 v31, v29, v2 :: v_dual_add_f32 v40, v30, v3
	v_add_f32_e32 v32, v6, v10
	v_sub_f32_e32 v38, v6, v2
	v_dual_add_f32 v44, v3, v15 :: v_dual_sub_f32 v39, v10, v14
	v_sub_f32_e32 v36, v3, v15
	v_dual_sub_f32 v37, v7, v11 :: v_dual_sub_f32 v34, v14, v10
	v_dual_add_f32 v41, v7, v11 :: v_dual_sub_f32 v42, v2, v14
	s_delay_alu instid0(VALU_DEP_4)
	v_add_f32_e32 v38, v38, v39
	v_add_f32_e32 v39, v40, v7
	;; [unrolled: 1-line block ×4, first 2 shown]
	v_fma_f32 v31, -0.5, v32, v29
	v_sub_f32_e32 v43, v6, v10
	v_add_f32_e32 v6, v33, v34
	v_fma_f32 v32, -0.5, v41, v30
	s_delay_alu instid0(VALU_DEP_4) | instskip(SKIP_1) | instid1(VALU_DEP_3)
	v_dual_fmac_f32 v30, -0.5, v44 :: v_dual_fmamk_f32 v33, v36, 0x3f737871, v31
	v_dual_fmac_f32 v31, 0xbf737871, v36 :: v_dual_add_f32 v2, v2, v10
	v_fmamk_f32 v34, v42, 0xbf737871, v32
	v_sub_f32_e32 v10, v3, v7
	v_sub_f32_e32 v3, v7, v3
	v_fmac_f32_e32 v33, 0x3f167918, v37
	v_dual_fmac_f32 v31, 0xbf167918, v37 :: v_dual_add_f32 v2, v2, v14
	v_dual_fmac_f32 v32, 0x3f737871, v42 :: v_dual_sub_f32 v7, v11, v15
	v_sub_f32_e32 v14, v15, v11
	v_fmac_f32_e32 v34, 0xbf167918, v43
	s_delay_alu instid0(VALU_DEP_3) | instskip(NEXT) | instid1(VALU_DEP_4)
	v_fmac_f32_e32 v32, 0x3f167918, v43
	v_add_f32_e32 v7, v3, v7
	v_fmac_f32_e32 v33, 0x3e9e377a, v6
	v_dual_fmac_f32 v31, 0x3e9e377a, v6 :: v_dual_add_f32 v6, v39, v11
	v_fma_f32 v29, -0.5, v35, v29
	v_add_f32_e32 v10, v10, v14
	s_delay_alu instid0(VALU_DEP_3) | instskip(NEXT) | instid1(VALU_DEP_3)
	v_add_f32_e32 v3, v6, v15
	v_fmamk_f32 v35, v37, 0xbf737871, v29
	v_fmac_f32_e32 v29, 0x3f737871, v37
	s_delay_alu instid0(VALU_DEP_4)
	v_fmac_f32_e32 v34, 0x3e9e377a, v10
	v_lshl_add_u32 v6, v20, 5, v27
	v_fmac_f32_e32 v32, 0x3e9e377a, v10
	v_fmac_f32_e32 v35, 0x3f167918, v36
	;; [unrolled: 1-line block ×3, first 2 shown]
	v_fmamk_f32 v36, v43, 0x3f737871, v30
	v_fmac_f32_e32 v30, 0xbf737871, v43
	s_delay_alu instid0(VALU_DEP_4) | instskip(NEXT) | instid1(VALU_DEP_4)
	v_fmac_f32_e32 v35, 0x3e9e377a, v38
	v_fmac_f32_e32 v29, 0x3e9e377a, v38
	s_delay_alu instid0(VALU_DEP_4) | instskip(NEXT) | instid1(VALU_DEP_4)
	v_fmac_f32_e32 v36, 0xbf167918, v42
	v_fmac_f32_e32 v30, 0x3f167918, v42
	s_delay_alu instid0(VALU_DEP_2) | instskip(NEXT) | instid1(VALU_DEP_2)
	v_fmac_f32_e32 v36, 0x3e9e377a, v7
	v_fmac_f32_e32 v30, 0x3e9e377a, v7
	ds_store_2addr_b64 v6, v[2:3], v[33:34] offset1:1
	ds_store_2addr_b64 v6, v[35:36], v[29:30] offset0:2 offset1:3
	ds_store_b64 v6, v[31:32] offset:32
	v_cmpx_gt_u32_e32 6, v20
	s_cbranch_execz .LBB0_14
; %bb.13:
	v_dual_add_f32 v2, v9, v13 :: v_dual_sub_f32 v15, v8, v12
	v_dual_sub_f32 v14, v4, v23 :: v_dual_sub_f32 v29, v5, v24
	v_dual_sub_f32 v31, v23, v12 :: v_dual_sub_f32 v32, v9, v13
	s_delay_alu instid0(VALU_DEP_3) | instskip(NEXT) | instid1(VALU_DEP_1)
	v_fma_f32 v3, -0.5, v2, v1
	v_dual_sub_f32 v10, v5, v9 :: v_dual_fmamk_f32 v7, v14, 0xbf737871, v3
	v_add_f32_e32 v6, v8, v12
	v_dual_sub_f32 v30, v4, v8 :: v_dual_fmac_f32 v3, 0x3f737871, v14
	s_delay_alu instid0(VALU_DEP_3) | instskip(NEXT) | instid1(VALU_DEP_3)
	v_fmac_f32_e32 v7, 0xbf167918, v15
	v_fma_f32 v2, -0.5, v6, v0
	s_delay_alu instid0(VALU_DEP_3) | instskip(SKIP_1) | instid1(VALU_DEP_2)
	v_dual_sub_f32 v11, v24, v13 :: v_dual_add_f32 v30, v30, v31
	v_add_f32_e32 v31, v1, v5
	v_dual_fmamk_f32 v6, v29, 0x3f737871, v2 :: v_dual_add_f32 v11, v10, v11
	v_add_f32_e32 v10, v5, v24
	v_fmac_f32_e32 v2, 0xbf737871, v29
	s_delay_alu instid0(VALU_DEP_3) | instskip(NEXT) | instid1(VALU_DEP_4)
	v_fmac_f32_e32 v6, 0x3f167918, v32
	v_fmac_f32_e32 v7, 0x3e9e377a, v11
	s_delay_alu instid0(VALU_DEP_4) | instskip(SKIP_4) | instid1(VALU_DEP_2)
	v_fma_f32 v1, -0.5, v10, v1
	v_add_f32_e32 v10, v31, v9
	v_sub_f32_e32 v9, v9, v5
	v_dual_add_f32 v33, v0, v4 :: v_dual_fmac_f32 v6, 0x3e9e377a, v30
	v_fmac_f32_e32 v2, 0xbf167918, v32
	v_add_f32_e32 v31, v33, v8
	v_dual_sub_f32 v33, v13, v24 :: v_dual_add_f32 v10, v10, v13
	v_fmamk_f32 v5, v15, 0xbf737871, v1
	v_dual_fmac_f32 v1, 0x3f737871, v15 :: v_dual_sub_f32 v8, v8, v4
	s_delay_alu instid0(VALU_DEP_4) | instskip(NEXT) | instid1(VALU_DEP_4)
	v_dual_add_f32 v13, v31, v12 :: v_dual_sub_f32 v12, v12, v23
	v_add_f32_e32 v31, v9, v33
	v_dual_add_f32 v33, v4, v23 :: v_dual_add_f32 v10, v10, v24
	s_delay_alu instid0(VALU_DEP_3) | instskip(NEXT) | instid1(VALU_DEP_4)
	v_add_f32_e32 v9, v13, v23
	v_dual_fmac_f32 v5, 0x3f167918, v14 :: v_dual_add_f32 v8, v8, v12
	s_delay_alu instid0(VALU_DEP_3) | instskip(SKIP_2) | instid1(VALU_DEP_3)
	v_fma_f32 v0, -0.5, v33, v0
	v_mul_i32_i24_e32 v12, 40, v22
	v_fmac_f32_e32 v2, 0x3e9e377a, v30
	v_fmamk_f32 v4, v32, 0x3f737871, v0
	v_fmac_f32_e32 v0, 0xbf737871, v32
	v_fmac_f32_e32 v3, 0x3f167918, v15
	s_delay_alu instid0(VALU_DEP_3) | instskip(NEXT) | instid1(VALU_DEP_3)
	v_dual_fmac_f32 v1, 0xbf167918, v14 :: v_dual_fmac_f32 v4, 0xbf167918, v29
	v_fmac_f32_e32 v0, 0x3f167918, v29
	s_delay_alu instid0(VALU_DEP_3) | instskip(SKIP_1) | instid1(VALU_DEP_4)
	v_fmac_f32_e32 v3, 0x3e9e377a, v11
	v_add3_u32 v11, 0, v12, v28
	v_dual_fmac_f32 v5, 0x3e9e377a, v31 :: v_dual_fmac_f32 v4, 0x3e9e377a, v8
	s_delay_alu instid0(VALU_DEP_4)
	v_dual_fmac_f32 v1, 0x3e9e377a, v31 :: v_dual_fmac_f32 v0, 0x3e9e377a, v8
	ds_store_2addr_b64 v11, v[9:10], v[6:7] offset1:1
	ds_store_2addr_b64 v11, v[0:1], v[4:5] offset0:2 offset1:3
	ds_store_b64 v11, v[2:3] offset:32
.LBB0_14:
	s_wait_alu 0xfffe
	s_or_b32 exec_lo, exec_lo, s1
	v_add_nc_u16 v4, v20, 20
	v_add_nc_u32_e32 v0, -5, v20
	v_and_b32_e32 v1, 0xff, v22
	v_cmp_gt_u32_e64 s0, 5, v20
	v_add_nc_u16 v5, v20, 30
	v_and_b32_e32 v3, 0xff, v4
	global_wb scope:SCOPE_SE
	s_wait_dscnt 0x0
	v_mul_lo_u16 v2, 0xcd, v1
	v_mov_b32_e32 v1, 0
	s_wait_alu 0xf1ff
	v_cndmask_b32_e64 v0, v0, v20, s0
	v_mul_lo_u16 v6, 0xcd, v3
	v_and_b32_e32 v7, 0xff, v5
	v_lshrrev_b16 v35, 10, v2
	s_barrier_signal -1
	v_lshlrev_b64_e32 v[2:3], 3, v[0:1]
	v_lshrrev_b16 v36, 10, v6
	v_mul_lo_u16 v6, 0xcd, v7
	v_mul_lo_u16 v8, v35, 5
	s_barrier_wait -1
	global_inv scope:SCOPE_SE
	v_add_co_u32 v2, s0, s8, v2
	s_wait_alu 0xf1ff
	v_add_co_ci_u32_e64 v3, s0, s9, v3, s0
	v_lshrrev_b16 v37, 10, v6
	v_sub_nc_u16 v6, v22, v8
	v_mul_lo_u16 v7, v36, 5
	global_load_b64 v[14:15], v[2:3], off
	v_cmp_lt_u32_e64 s0, 4, v20
	v_mul_lo_u16 v2, v37, 5
	v_and_b32_e32 v3, 0xff, v6
	v_sub_nc_u16 v4, v4, v7
	v_and_b32_e32 v45, 0xffff, v36
	s_wait_alu 0xf1ff
	v_cndmask_b32_e64 v34, 0, 0x50, s0
	v_sub_nc_u16 v2, v5, v2
	v_lshlrev_b32_e32 v38, 3, v3
	v_and_b32_e32 v3, 0xff, v4
	v_mul_u32_u24_e32 v41, 7, v20
	v_add_nc_u32_e32 v43, 0, v34
	v_and_b32_e32 v2, 0xff, v2
	global_load_b64 v[23:24], v38, s[8:9]
	v_lshlrev_b32_e32 v39, 3, v3
	v_and_b32_e32 v37, 0xffff, v37
	s_mov_b32 s1, exec_lo
	v_lshlrev_b32_e32 v40, 3, v2
	s_clause 0x1
	global_load_b64 v[29:30], v39, s[8:9]
	global_load_b64 v[31:32], v40, s[8:9]
	ds_load_2addr_b64 v[2:5], v27 offset0:40 offset1:50
	ds_load_2addr_b64 v[6:9], v27 offset0:20 offset1:30
	;; [unrolled: 1-line block ×3, first 2 shown]
	v_lshlrev_b32_e32 v33, 3, v22
	v_and_b32_e32 v44, 0xffff, v35
	v_mad_u32_u24 v37, 0x50, v37, 0
	s_delay_alu instid0(VALU_DEP_3)
	v_add3_u32 v42, 0, v33, v28
	ds_load_b64 v[33:34], v26
	ds_load_b64 v[35:36], v42
	v_lshlrev_b32_e32 v0, 3, v0
	global_wb scope:SCOPE_SE
	s_wait_loadcnt_dscnt 0x0
	s_barrier_signal -1
	s_barrier_wait -1
	global_inv scope:SCOPE_SE
	v_add3_u32 v0, v43, v0, v28
	v_mad_u32_u24 v43, 0x50, v44, 0
	v_mad_u32_u24 v44, 0x50, v45, 0
	v_mul_f32_e32 v45, v15, v3
	v_mul_f32_e32 v15, v15, v2
	s_delay_alu instid0(VALU_DEP_4) | instskip(NEXT) | instid1(VALU_DEP_3)
	v_add3_u32 v38, v43, v38, v28
	v_fma_f32 v2, v14, v2, -v45
	s_delay_alu instid0(VALU_DEP_1) | instskip(NEXT) | instid1(VALU_DEP_1)
	v_dual_fmac_f32 v15, v14, v3 :: v_dual_sub_f32 v2, v33, v2
	v_sub_f32_e32 v3, v34, v15
	v_mul_f32_e32 v43, v24, v5
	v_mul_f32_e32 v24, v24, v4
	s_delay_alu instid0(VALU_DEP_4) | instskip(NEXT) | instid1(VALU_DEP_4)
	v_fma_f32 v14, v33, 2.0, -v2
	v_fma_f32 v15, v34, 2.0, -v3
	s_delay_alu instid0(VALU_DEP_4) | instskip(NEXT) | instid1(VALU_DEP_4)
	v_fma_f32 v4, v23, v4, -v43
	v_dual_fmac_f32 v24, v23, v5 :: v_dual_mul_f32 v33, v30, v11
	v_mul_f32_e32 v23, v30, v10
	v_mul_f32_e32 v5, v32, v13
	;; [unrolled: 1-line block ×3, first 2 shown]
	v_sub_f32_e32 v4, v35, v4
	v_fma_f32 v32, v29, v10, -v33
	v_fmac_f32_e32 v23, v29, v11
	v_fma_f32 v11, v31, v12, -v5
	v_dual_fmac_f32 v30, v31, v13 :: v_dual_sub_f32 v5, v36, v24
	s_delay_alu instid0(VALU_DEP_3) | instskip(NEXT) | instid1(VALU_DEP_2)
	v_dual_sub_f32 v12, v6, v32 :: v_dual_sub_f32 v13, v7, v23
	v_dual_sub_f32 v24, v9, v30 :: v_dual_lshlrev_b32 v41, 3, v41
	s_delay_alu instid0(VALU_DEP_4)
	v_sub_f32_e32 v23, v8, v11
	v_fma_f32 v10, v35, 2.0, -v4
	v_fma_f32 v11, v36, 2.0, -v5
	v_add3_u32 v39, v44, v39, v28
	v_fma_f32 v6, v6, 2.0, -v12
	v_fma_f32 v7, v7, 2.0, -v13
	v_add3_u32 v28, v37, v40, v28
	v_fma_f32 v8, v8, 2.0, -v23
	v_fma_f32 v9, v9, 2.0, -v24
	ds_store_2addr_b64 v0, v[14:15], v[2:3] offset1:5
	ds_store_2addr_b64 v38, v[10:11], v[4:5] offset1:5
	;; [unrolled: 1-line block ×4, first 2 shown]
	global_wb scope:SCOPE_SE
	s_wait_dscnt 0x0
	s_barrier_signal -1
	s_barrier_wait -1
	global_inv scope:SCOPE_SE
	s_clause 0x3
	global_load_b128 v[2:5], v41, s[8:9] offset:40
	global_load_b128 v[6:9], v41, s[8:9] offset:56
	;; [unrolled: 1-line block ×3, first 2 shown]
	global_load_b64 v[14:15], v41, s[8:9] offset:88
	ds_load_b64 v[23:24], v42
	ds_load_2addr_b64 v[28:31], v27 offset0:20 offset1:30
	ds_load_2addr_b64 v[32:35], v27 offset0:40 offset1:50
	;; [unrolled: 1-line block ×3, first 2 shown]
	ds_load_b64 v[40:41], v26
	global_wb scope:SCOPE_SE
	s_wait_loadcnt_dscnt 0x0
	s_barrier_signal -1
	s_barrier_wait -1
	global_inv scope:SCOPE_SE
	v_mul_f32_e32 v0, v3, v24
	v_mul_f32_e32 v3, v3, v23
	;; [unrolled: 1-line block ×3, first 2 shown]
	v_dual_mul_f32 v11, v11, v34 :: v_dual_mul_f32 v42, v5, v29
	v_mul_f32_e32 v5, v5, v28
	s_delay_alu instid0(VALU_DEP_4) | instskip(NEXT) | instid1(VALU_DEP_3)
	v_dual_fmac_f32 v3, v2, v24 :: v_dual_mul_f32 v44, v9, v33
	v_dual_fmac_f32 v11, v10, v35 :: v_dual_mul_f32 v46, v13, v37
	v_mul_f32_e32 v13, v13, v36
	v_fma_f32 v0, v2, v23, -v0
	v_fma_f32 v2, v4, v28, -v42
	s_delay_alu instid0(VALU_DEP_4) | instskip(SKIP_3) | instid1(VALU_DEP_4)
	v_sub_f32_e32 v11, v3, v11
	v_fmac_f32_e32 v5, v4, v29
	v_fmac_f32_e32 v13, v12, v37
	v_mul_f32_e32 v47, v39, v15
	v_fma_f32 v24, v3, 2.0, -v11
	v_mul_f32_e32 v43, v7, v31
	v_mul_f32_e32 v7, v7, v30
	v_sub_f32_e32 v13, v5, v13
	s_delay_alu instid0(VALU_DEP_3) | instskip(NEXT) | instid1(VALU_DEP_3)
	v_fma_f32 v4, v6, v30, -v43
	v_fmac_f32_e32 v7, v6, v31
	v_fma_f32 v6, v8, v32, -v44
	s_delay_alu instid0(VALU_DEP_4) | instskip(NEXT) | instid1(VALU_DEP_2)
	v_fma_f32 v5, v5, 2.0, -v13
	v_sub_f32_e32 v6, v40, v6
	s_delay_alu instid0(VALU_DEP_1) | instskip(NEXT) | instid1(VALU_DEP_1)
	v_sub_f32_e32 v13, v6, v13
	v_fma_f32 v30, v6, 2.0, -v13
	v_mul_f32_e32 v9, v9, v32
	s_delay_alu instid0(VALU_DEP_1) | instskip(SKIP_3) | instid1(VALU_DEP_3)
	v_fmac_f32_e32 v9, v8, v33
	v_fma_f32 v8, v10, v34, -v45
	v_fma_f32 v10, v12, v36, -v46
	v_fma_f32 v12, v38, v14, -v47
	v_dual_sub_f32 v9, v41, v9 :: v_dual_sub_f32 v8, v0, v8
	s_delay_alu instid0(VALU_DEP_3) | instskip(NEXT) | instid1(VALU_DEP_3)
	v_sub_f32_e32 v10, v2, v10
	v_dual_sub_f32 v12, v4, v12 :: v_dual_mul_f32 v15, v38, v15
	s_delay_alu instid0(VALU_DEP_3) | instskip(NEXT) | instid1(VALU_DEP_4)
	v_fma_f32 v23, v41, 2.0, -v9
	v_fma_f32 v0, v0, 2.0, -v8
	s_delay_alu instid0(VALU_DEP_4) | instskip(NEXT) | instid1(VALU_DEP_4)
	v_fma_f32 v2, v2, 2.0, -v10
	v_fma_f32 v3, v4, 2.0, -v12
	v_add_f32_e32 v12, v11, v12
	v_fmac_f32_e32 v15, v39, v14
	v_dual_add_f32 v28, v9, v10 :: v_dual_sub_f32 v29, v23, v5
	s_delay_alu instid0(VALU_DEP_3) | instskip(NEXT) | instid1(VALU_DEP_3)
	v_fma_f32 v11, v11, 2.0, -v12
	v_sub_f32_e32 v14, v7, v15
	v_fma_f32 v15, v40, 2.0, -v6
	s_delay_alu instid0(VALU_DEP_4) | instskip(SKIP_1) | instid1(VALU_DEP_4)
	v_fma_f32 v31, v9, 2.0, -v28
	v_fma_f32 v23, v23, 2.0, -v29
	v_fma_f32 v4, v7, 2.0, -v14
	v_sub_f32_e32 v10, v8, v14
	v_dual_sub_f32 v14, v15, v2 :: v_dual_sub_f32 v7, v0, v3
	v_fmamk_f32 v3, v12, 0x3f3504f3, v28
	s_delay_alu instid0(VALU_DEP_4) | instskip(NEXT) | instid1(VALU_DEP_4)
	v_sub_f32_e32 v6, v24, v4
	v_fma_f32 v32, v8, 2.0, -v10
	v_fmamk_f32 v2, v10, 0x3f3504f3, v13
	v_fma_f32 v15, v15, 2.0, -v14
	v_fma_f32 v0, v0, 2.0, -v7
	;; [unrolled: 1-line block ×3, first 2 shown]
	v_dual_fmamk_f32 v4, v32, 0xbf3504f3, v30 :: v_dual_fmamk_f32 v5, v11, 0xbf3504f3, v31
	v_dual_sub_f32 v6, v14, v6 :: v_dual_add_f32 v7, v29, v7
	v_fmac_f32_e32 v2, 0xbf3504f3, v12
	v_dual_fmac_f32 v3, 0x3f3504f3, v10 :: v_dual_sub_f32 v8, v15, v0
	s_delay_alu instid0(VALU_DEP_4)
	v_dual_sub_f32 v9, v23, v9 :: v_dual_fmac_f32 v4, 0xbf3504f3, v11
	v_fmac_f32_e32 v5, 0x3f3504f3, v32
	v_fma_f32 v10, v14, 2.0, -v6
	v_fma_f32 v11, v29, 2.0, -v7
	;; [unrolled: 1-line block ×8, first 2 shown]
	ds_store_2addr_b64 v27, v[6:7], v[2:3] offset0:60 offset1:70
	ds_store_2addr_b64 v27, v[10:11], v[12:13] offset0:20 offset1:30
	;; [unrolled: 1-line block ×3, first 2 shown]
	ds_store_2addr_b64 v27, v[14:15], v[23:24] offset1:10
	global_wb scope:SCOPE_SE
	s_wait_dscnt 0x0
	s_barrier_signal -1
	s_barrier_wait -1
	global_inv scope:SCOPE_SE
	ds_load_b64 v[4:5], v26
	v_sub_nc_u32_e32 v6, v25, v21
                                        ; implicit-def: $vgpr0
                                        ; implicit-def: $vgpr7
                                        ; implicit-def: $vgpr8
                                        ; implicit-def: $vgpr2_vgpr3
	v_cmpx_ne_u32_e32 0, v20
	s_wait_alu 0xfffe
	s_xor_b32 s1, exec_lo, s1
	s_cbranch_execz .LBB0_16
; %bb.15:
	ds_load_b64 v[2:3], v6 offset:640
	s_wait_dscnt 0x0
	v_dual_mov_b32 v21, v1 :: v_dual_add_f32 v8, v3, v5
	s_delay_alu instid0(VALU_DEP_1) | instskip(SKIP_2) | instid1(VALU_DEP_2)
	v_lshlrev_b64_e32 v[0:1], 3, v[20:21]
	v_dual_sub_f32 v7, v4, v2 :: v_dual_add_f32 v2, v2, v4
	v_sub_f32_e32 v3, v5, v3
	v_mul_f32_e32 v5, 0.5, v7
	s_delay_alu instid0(VALU_DEP_4)
	v_add_co_u32 v0, s0, s8, v0
	s_wait_alu 0xf1ff
	v_add_co_ci_u32_e64 v1, s0, s9, v1, s0
	v_mul_f32_e32 v3, 0.5, v3
	global_load_b64 v[0:1], v[0:1], off offset:600
	s_wait_loadcnt 0x0
	v_dual_mul_f32 v9, 0.5, v8 :: v_dual_mul_f32 v4, v1, v5
	s_delay_alu instid0(VALU_DEP_1) | instskip(SKIP_1) | instid1(VALU_DEP_3)
	v_fma_f32 v8, v9, v1, v3
	v_fma_f32 v1, v9, v1, -v3
	v_fma_f32 v7, 0.5, v2, v4
	v_fma_f32 v2, v2, 0.5, -v4
	s_delay_alu instid0(VALU_DEP_4) | instskip(NEXT) | instid1(VALU_DEP_4)
	v_fma_f32 v8, -v0, v5, v8
	v_fma_f32 v1, -v0, v5, v1
                                        ; implicit-def: $vgpr4_vgpr5
	s_delay_alu instid0(VALU_DEP_4) | instskip(NEXT) | instid1(VALU_DEP_4)
	v_fmac_f32_e32 v7, v0, v9
	v_fma_f32 v0, -v0, v9, v2
	v_dual_mov_b32 v2, v20 :: v_dual_mov_b32 v3, v21
.LBB0_16:
	s_wait_alu 0xfffe
	s_and_not1_saveexec_b32 s0, s1
	s_cbranch_execz .LBB0_18
; %bb.17:
	ds_load_b32 v1, v25 offset:324
	s_wait_dscnt 0x1
	v_dual_add_f32 v7, v4, v5 :: v_dual_mov_b32 v2, 0
	v_dual_sub_f32 v0, v4, v5 :: v_dual_mov_b32 v3, 0
	v_mov_b32_e32 v8, 0
	s_wait_dscnt 0x0
	v_xor_b32_e32 v4, 0x80000000, v1
	v_mov_b32_e32 v1, 0
	ds_store_b32 v25, v4 offset:324
.LBB0_18:
	s_wait_alu 0xfffe
	s_or_b32 exec_lo, exec_lo, s0
	v_mov_b32_e32 v23, 0
	v_lshlrev_b64_e32 v[2:3], 3, v[2:3]
	v_lshl_add_u32 v11, v22, 3, v25
	s_wait_dscnt 0x0
	s_delay_alu instid0(VALU_DEP_3) | instskip(NEXT) | instid1(VALU_DEP_1)
	v_lshlrev_b64_e32 v[4:5], 3, v[22:23]
	v_add_co_u32 v4, s0, s8, v4
	s_wait_alu 0xf1ff
	s_delay_alu instid0(VALU_DEP_2)
	v_add_co_ci_u32_e64 v5, s0, s9, v5, s0
	s_add_nc_u64 s[0:1], s[8:9], 0x258
	s_wait_alu 0xfffe
	v_add_co_u32 v2, s0, s0, v2
	global_load_b64 v[4:5], v[4:5], off offset:600
	s_wait_alu 0xf1ff
	v_add_co_ci_u32_e64 v3, s0, s1, v3, s0
	s_clause 0x1
	global_load_b64 v[9:10], v[2:3], off offset:160
	global_load_b64 v[2:3], v[2:3], off offset:240
	ds_store_2addr_b32 v26, v7, v8 offset1:1
	ds_store_b64 v6, v[0:1] offset:640
	ds_load_b64 v[0:1], v11
	ds_load_b64 v[7:8], v6 offset:560
	s_wait_dscnt 0x0
	v_dual_sub_f32 v12, v0, v7 :: v_dual_add_f32 v13, v1, v8
	v_dual_add_f32 v0, v0, v7 :: v_dual_sub_f32 v1, v1, v8
	s_delay_alu instid0(VALU_DEP_2) | instskip(NEXT) | instid1(VALU_DEP_3)
	v_mul_f32_e32 v8, 0.5, v12
	v_mul_f32_e32 v12, 0.5, v13
	s_delay_alu instid0(VALU_DEP_3) | instskip(SKIP_1) | instid1(VALU_DEP_3)
	v_mul_f32_e32 v1, 0.5, v1
	s_wait_loadcnt 0x2
	v_mul_f32_e32 v7, v5, v8
	s_delay_alu instid0(VALU_DEP_2) | instskip(SKIP_1) | instid1(VALU_DEP_3)
	v_fma_f32 v13, v12, v5, v1
	v_fma_f32 v1, v12, v5, -v1
	v_fma_f32 v5, 0.5, v0, v7
	v_fma_f32 v0, v0, 0.5, -v7
	s_delay_alu instid0(VALU_DEP_4) | instskip(NEXT) | instid1(VALU_DEP_4)
	v_fma_f32 v7, -v4, v8, v13
	v_fma_f32 v1, -v4, v8, v1
	s_delay_alu instid0(VALU_DEP_4) | instskip(NEXT) | instid1(VALU_DEP_4)
	v_fmac_f32_e32 v5, v4, v12
	v_fma_f32 v0, -v4, v12, v0
	ds_store_2addr_b32 v11, v5, v7 offset1:1
	ds_store_b64 v6, v[0:1] offset:560
	ds_load_b64 v[0:1], v26 offset:160
	ds_load_b64 v[4:5], v6 offset:480
	s_wait_dscnt 0x0
	v_dual_sub_f32 v7, v0, v4 :: v_dual_add_f32 v8, v1, v5
	v_dual_sub_f32 v1, v1, v5 :: v_dual_add_f32 v0, v0, v4
	s_delay_alu instid0(VALU_DEP_2) | instskip(NEXT) | instid1(VALU_DEP_3)
	v_mul_f32_e32 v5, 0.5, v7
	v_mul_f32_e32 v7, 0.5, v8
	s_delay_alu instid0(VALU_DEP_3) | instskip(SKIP_1) | instid1(VALU_DEP_3)
	v_mul_f32_e32 v1, 0.5, v1
	s_wait_loadcnt 0x1
	v_mul_f32_e32 v4, v10, v5
	s_delay_alu instid0(VALU_DEP_2) | instskip(SKIP_1) | instid1(VALU_DEP_3)
	v_fma_f32 v8, v7, v10, v1
	v_fma_f32 v1, v7, v10, -v1
	v_fma_f32 v10, 0.5, v0, v4
	v_fma_f32 v0, v0, 0.5, -v4
	s_delay_alu instid0(VALU_DEP_4) | instskip(NEXT) | instid1(VALU_DEP_4)
	v_fma_f32 v4, -v9, v5, v8
	v_fma_f32 v1, -v9, v5, v1
	s_delay_alu instid0(VALU_DEP_4) | instskip(NEXT) | instid1(VALU_DEP_4)
	v_fmac_f32_e32 v10, v9, v7
	v_fma_f32 v0, -v9, v7, v0
	ds_store_2addr_b32 v26, v10, v4 offset0:40 offset1:41
	ds_store_b64 v6, v[0:1] offset:480
	ds_load_b64 v[0:1], v26 offset:240
	ds_load_b64 v[4:5], v6 offset:400
	s_wait_dscnt 0x0
	v_dual_add_f32 v8, v1, v5 :: v_dual_sub_f32 v7, v0, v4
	v_dual_sub_f32 v1, v1, v5 :: v_dual_add_f32 v0, v0, v4
	s_delay_alu instid0(VALU_DEP_2) | instskip(NEXT) | instid1(VALU_DEP_3)
	v_mul_f32_e32 v5, 0.5, v7
	v_mul_f32_e32 v7, 0.5, v8
	s_delay_alu instid0(VALU_DEP_3) | instskip(SKIP_1) | instid1(VALU_DEP_3)
	v_mul_f32_e32 v1, 0.5, v1
	s_wait_loadcnt 0x0
	v_mul_f32_e32 v4, v3, v5
	s_delay_alu instid0(VALU_DEP_2) | instskip(SKIP_1) | instid1(VALU_DEP_3)
	v_fma_f32 v8, v7, v3, v1
	v_fma_f32 v1, v7, v3, -v1
	v_fma_f32 v3, 0.5, v0, v4
	v_fma_f32 v0, v0, 0.5, -v4
	s_delay_alu instid0(VALU_DEP_4) | instskip(NEXT) | instid1(VALU_DEP_4)
	v_fma_f32 v4, -v2, v5, v8
	v_fma_f32 v1, -v2, v5, v1
	s_delay_alu instid0(VALU_DEP_4) | instskip(NEXT) | instid1(VALU_DEP_4)
	v_fmac_f32_e32 v3, v2, v7
	v_fma_f32 v0, -v2, v7, v0
	ds_store_2addr_b32 v26, v3, v4 offset0:60 offset1:61
	ds_store_b64 v6, v[0:1] offset:400
	global_wb scope:SCOPE_SE
	s_wait_dscnt 0x0
	s_barrier_signal -1
	s_barrier_wait -1
	global_inv scope:SCOPE_SE
	s_and_saveexec_b32 s0, vcc_lo
	s_cbranch_execz .LBB0_21
; %bb.19:
	v_mul_lo_u32 v3, s3, v18
	v_mul_lo_u32 v4, s2, v19
	v_mad_co_u64_u32 v[0:1], null, s2, v18, 0
	v_dual_mov_b32 v21, v23 :: v_dual_add_nc_u32 v22, 10, v20
	v_lshlrev_b64_e32 v[11:12], 3, v[16:17]
	v_lshl_add_u32 v2, v20, 3, v25
	s_delay_alu instid0(VALU_DEP_3)
	v_lshlrev_b64_e32 v[13:14], 3, v[20:21]
	v_add3_u32 v1, v1, v4, v3
	v_lshlrev_b64_e32 v[15:16], 3, v[22:23]
	ds_load_2addr_b64 v[3:6], v2 offset1:10
	v_add_nc_u32_e32 v22, 20, v20
	ds_load_2addr_b64 v[7:10], v2 offset0:20 offset1:30
	v_lshlrev_b64_e32 v[0:1], 3, v[0:1]
	v_lshlrev_b64_e32 v[17:18], 3, v[22:23]
	v_add_nc_u32_e32 v22, 30, v20
	s_delay_alu instid0(VALU_DEP_3) | instskip(SKIP_1) | instid1(VALU_DEP_4)
	v_add_co_u32 v0, vcc_lo, s6, v0
	s_wait_alu 0xfffd
	v_add_co_ci_u32_e32 v1, vcc_lo, s7, v1, vcc_lo
	s_delay_alu instid0(VALU_DEP_2) | instskip(SKIP_1) | instid1(VALU_DEP_2)
	v_add_co_u32 v0, vcc_lo, v0, v11
	s_wait_alu 0xfffd
	v_add_co_ci_u32_e32 v1, vcc_lo, v1, v12, vcc_lo
	s_delay_alu instid0(VALU_DEP_2) | instskip(SKIP_1) | instid1(VALU_DEP_2)
	v_add_co_u32 v11, vcc_lo, v0, v13
	s_wait_alu 0xfffd
	v_add_co_ci_u32_e32 v12, vcc_lo, v1, v14, vcc_lo
	v_add_co_u32 v13, vcc_lo, v0, v15
	s_wait_alu 0xfffd
	v_add_co_ci_u32_e32 v14, vcc_lo, v1, v16, vcc_lo
	v_lshlrev_b64_e32 v[15:16], 3, v[22:23]
	v_add_nc_u32_e32 v22, 40, v20
	v_add_co_u32 v17, vcc_lo, v0, v17
	s_wait_alu 0xfffd
	v_add_co_ci_u32_e32 v18, vcc_lo, v1, v18, vcc_lo
	s_delay_alu instid0(VALU_DEP_3)
	v_lshlrev_b64_e32 v[24:25], 3, v[22:23]
	v_add_nc_u32_e32 v22, 50, v20
	v_add_co_u32 v15, vcc_lo, v0, v15
	s_wait_alu 0xfffd
	v_add_co_ci_u32_e32 v16, vcc_lo, v1, v16, vcc_lo
	s_wait_dscnt 0x1
	s_clause 0x1
	global_store_b64 v[11:12], v[3:4], off
	global_store_b64 v[13:14], v[5:6], off
	s_wait_dscnt 0x0
	s_clause 0x1
	global_store_b64 v[17:18], v[7:8], off
	global_store_b64 v[15:16], v[9:10], off
	v_lshlrev_b64_e32 v[11:12], 3, v[22:23]
	v_add_nc_u32_e32 v22, 60, v20
	ds_load_2addr_b64 v[3:6], v2 offset0:40 offset1:50
	ds_load_2addr_b64 v[7:10], v2 offset0:60 offset1:70
	v_add_co_u32 v13, vcc_lo, v0, v24
	v_lshlrev_b64_e32 v[15:16], 3, v[22:23]
	v_add_nc_u32_e32 v22, 0x46, v20
	s_wait_alu 0xfffd
	v_add_co_ci_u32_e32 v14, vcc_lo, v1, v25, vcc_lo
	v_add_co_u32 v11, vcc_lo, v0, v11
	s_delay_alu instid0(VALU_DEP_3)
	v_lshlrev_b64_e32 v[17:18], 3, v[22:23]
	s_wait_alu 0xfffd
	v_add_co_ci_u32_e32 v12, vcc_lo, v1, v12, vcc_lo
	v_add_co_u32 v15, vcc_lo, v0, v15
	s_wait_alu 0xfffd
	v_add_co_ci_u32_e32 v16, vcc_lo, v1, v16, vcc_lo
	v_add_co_u32 v17, vcc_lo, v0, v17
	s_wait_alu 0xfffd
	v_add_co_ci_u32_e32 v18, vcc_lo, v1, v18, vcc_lo
	v_cmp_eq_u32_e32 vcc_lo, 9, v20
	s_wait_dscnt 0x1
	s_clause 0x1
	global_store_b64 v[13:14], v[3:4], off
	global_store_b64 v[11:12], v[5:6], off
	s_wait_dscnt 0x0
	s_clause 0x1
	global_store_b64 v[15:16], v[7:8], off
	global_store_b64 v[17:18], v[9:10], off
	s_and_b32 exec_lo, exec_lo, vcc_lo
	s_cbranch_execz .LBB0_21
; %bb.20:
	ds_load_b64 v[2:3], v2 offset:568
	s_wait_dscnt 0x0
	global_store_b64 v[0:1], v[2:3], off offset:640
.LBB0_21:
	s_nop 0
	s_sendmsg sendmsg(MSG_DEALLOC_VGPRS)
	s_endpgm
	.section	.rodata,"a",@progbits
	.p2align	6, 0x0
	.amdhsa_kernel fft_rtc_fwd_len80_factors_5_2_8_wgs_60_tpt_10_halfLds_sp_op_CI_CI_unitstride_sbrr_R2C_dirReg
		.amdhsa_group_segment_fixed_size 0
		.amdhsa_private_segment_fixed_size 0
		.amdhsa_kernarg_size 104
		.amdhsa_user_sgpr_count 2
		.amdhsa_user_sgpr_dispatch_ptr 0
		.amdhsa_user_sgpr_queue_ptr 0
		.amdhsa_user_sgpr_kernarg_segment_ptr 1
		.amdhsa_user_sgpr_dispatch_id 0
		.amdhsa_user_sgpr_private_segment_size 0
		.amdhsa_wavefront_size32 1
		.amdhsa_uses_dynamic_stack 0
		.amdhsa_enable_private_segment 0
		.amdhsa_system_sgpr_workgroup_id_x 1
		.amdhsa_system_sgpr_workgroup_id_y 0
		.amdhsa_system_sgpr_workgroup_id_z 0
		.amdhsa_system_sgpr_workgroup_info 0
		.amdhsa_system_vgpr_workitem_id 0
		.amdhsa_next_free_vgpr 48
		.amdhsa_next_free_sgpr 39
		.amdhsa_reserve_vcc 1
		.amdhsa_float_round_mode_32 0
		.amdhsa_float_round_mode_16_64 0
		.amdhsa_float_denorm_mode_32 3
		.amdhsa_float_denorm_mode_16_64 3
		.amdhsa_fp16_overflow 0
		.amdhsa_workgroup_processor_mode 1
		.amdhsa_memory_ordered 1
		.amdhsa_forward_progress 0
		.amdhsa_round_robin_scheduling 0
		.amdhsa_exception_fp_ieee_invalid_op 0
		.amdhsa_exception_fp_denorm_src 0
		.amdhsa_exception_fp_ieee_div_zero 0
		.amdhsa_exception_fp_ieee_overflow 0
		.amdhsa_exception_fp_ieee_underflow 0
		.amdhsa_exception_fp_ieee_inexact 0
		.amdhsa_exception_int_div_zero 0
	.end_amdhsa_kernel
	.text
.Lfunc_end0:
	.size	fft_rtc_fwd_len80_factors_5_2_8_wgs_60_tpt_10_halfLds_sp_op_CI_CI_unitstride_sbrr_R2C_dirReg, .Lfunc_end0-fft_rtc_fwd_len80_factors_5_2_8_wgs_60_tpt_10_halfLds_sp_op_CI_CI_unitstride_sbrr_R2C_dirReg
                                        ; -- End function
	.section	.AMDGPU.csdata,"",@progbits
; Kernel info:
; codeLenInByte = 5648
; NumSgprs: 41
; NumVgprs: 48
; ScratchSize: 0
; MemoryBound: 0
; FloatMode: 240
; IeeeMode: 1
; LDSByteSize: 0 bytes/workgroup (compile time only)
; SGPRBlocks: 5
; VGPRBlocks: 5
; NumSGPRsForWavesPerEU: 41
; NumVGPRsForWavesPerEU: 48
; Occupancy: 16
; WaveLimiterHint : 1
; COMPUTE_PGM_RSRC2:SCRATCH_EN: 0
; COMPUTE_PGM_RSRC2:USER_SGPR: 2
; COMPUTE_PGM_RSRC2:TRAP_HANDLER: 0
; COMPUTE_PGM_RSRC2:TGID_X_EN: 1
; COMPUTE_PGM_RSRC2:TGID_Y_EN: 0
; COMPUTE_PGM_RSRC2:TGID_Z_EN: 0
; COMPUTE_PGM_RSRC2:TIDIG_COMP_CNT: 0
	.text
	.p2alignl 7, 3214868480
	.fill 96, 4, 3214868480
	.type	__hip_cuid_a5d5c37208e37719,@object ; @__hip_cuid_a5d5c37208e37719
	.section	.bss,"aw",@nobits
	.globl	__hip_cuid_a5d5c37208e37719
__hip_cuid_a5d5c37208e37719:
	.byte	0                               ; 0x0
	.size	__hip_cuid_a5d5c37208e37719, 1

	.ident	"AMD clang version 19.0.0git (https://github.com/RadeonOpenCompute/llvm-project roc-6.4.0 25133 c7fe45cf4b819c5991fe208aaa96edf142730f1d)"
	.section	".note.GNU-stack","",@progbits
	.addrsig
	.addrsig_sym __hip_cuid_a5d5c37208e37719
	.amdgpu_metadata
---
amdhsa.kernels:
  - .args:
      - .actual_access:  read_only
        .address_space:  global
        .offset:         0
        .size:           8
        .value_kind:     global_buffer
      - .offset:         8
        .size:           8
        .value_kind:     by_value
      - .actual_access:  read_only
        .address_space:  global
        .offset:         16
        .size:           8
        .value_kind:     global_buffer
      - .actual_access:  read_only
        .address_space:  global
        .offset:         24
        .size:           8
        .value_kind:     global_buffer
      - .actual_access:  read_only
        .address_space:  global
        .offset:         32
        .size:           8
        .value_kind:     global_buffer
      - .offset:         40
        .size:           8
        .value_kind:     by_value
      - .actual_access:  read_only
        .address_space:  global
        .offset:         48
        .size:           8
        .value_kind:     global_buffer
      - .actual_access:  read_only
        .address_space:  global
        .offset:         56
        .size:           8
        .value_kind:     global_buffer
      - .offset:         64
        .size:           4
        .value_kind:     by_value
      - .actual_access:  read_only
        .address_space:  global
        .offset:         72
        .size:           8
        .value_kind:     global_buffer
      - .actual_access:  read_only
        .address_space:  global
        .offset:         80
        .size:           8
        .value_kind:     global_buffer
      - .actual_access:  read_only
        .address_space:  global
        .offset:         88
        .size:           8
        .value_kind:     global_buffer
      - .actual_access:  write_only
        .address_space:  global
        .offset:         96
        .size:           8
        .value_kind:     global_buffer
    .group_segment_fixed_size: 0
    .kernarg_segment_align: 8
    .kernarg_segment_size: 104
    .language:       OpenCL C
    .language_version:
      - 2
      - 0
    .max_flat_workgroup_size: 60
    .name:           fft_rtc_fwd_len80_factors_5_2_8_wgs_60_tpt_10_halfLds_sp_op_CI_CI_unitstride_sbrr_R2C_dirReg
    .private_segment_fixed_size: 0
    .sgpr_count:     41
    .sgpr_spill_count: 0
    .symbol:         fft_rtc_fwd_len80_factors_5_2_8_wgs_60_tpt_10_halfLds_sp_op_CI_CI_unitstride_sbrr_R2C_dirReg.kd
    .uniform_work_group_size: 1
    .uses_dynamic_stack: false
    .vgpr_count:     48
    .vgpr_spill_count: 0
    .wavefront_size: 32
    .workgroup_processor_mode: 1
amdhsa.target:   amdgcn-amd-amdhsa--gfx1201
amdhsa.version:
  - 1
  - 2
...

	.end_amdgpu_metadata
